;; amdgpu-corpus repo=ROCm/rocFFT kind=compiled arch=gfx1030 opt=O3
	.text
	.amdgcn_target "amdgcn-amd-amdhsa--gfx1030"
	.amdhsa_code_object_version 6
	.protected	fft_rtc_back_len1350_factors_5_10_3_3_3_wgs_135_tpt_135_halfLds_dp_ip_CI_unitstride_sbrr_dirReg ; -- Begin function fft_rtc_back_len1350_factors_5_10_3_3_3_wgs_135_tpt_135_halfLds_dp_ip_CI_unitstride_sbrr_dirReg
	.globl	fft_rtc_back_len1350_factors_5_10_3_3_3_wgs_135_tpt_135_halfLds_dp_ip_CI_unitstride_sbrr_dirReg
	.p2align	8
	.type	fft_rtc_back_len1350_factors_5_10_3_3_3_wgs_135_tpt_135_halfLds_dp_ip_CI_unitstride_sbrr_dirReg,@function
fft_rtc_back_len1350_factors_5_10_3_3_3_wgs_135_tpt_135_halfLds_dp_ip_CI_unitstride_sbrr_dirReg: ; @fft_rtc_back_len1350_factors_5_10_3_3_3_wgs_135_tpt_135_halfLds_dp_ip_CI_unitstride_sbrr_dirReg
; %bb.0:
	s_clause 0x2
	s_load_dwordx4 s[8:11], s[4:5], 0x0
	s_load_dwordx2 s[2:3], s[4:5], 0x50
	s_load_dwordx2 s[12:13], s[4:5], 0x18
	v_mul_u32_u24_e32 v1, 0x1e6, v0
	v_mov_b32_e32 v3, 0
	v_add_nc_u32_sdwa v5, s6, v1 dst_sel:DWORD dst_unused:UNUSED_PAD src0_sel:DWORD src1_sel:WORD_1
	v_mov_b32_e32 v1, 0
	v_mov_b32_e32 v6, v3
	v_mov_b32_e32 v2, 0
	s_waitcnt lgkmcnt(0)
	v_cmp_lt_u64_e64 s0, s[10:11], 2
	s_and_b32 vcc_lo, exec_lo, s0
	s_cbranch_vccnz .LBB0_8
; %bb.1:
	s_load_dwordx2 s[0:1], s[4:5], 0x10
	v_mov_b32_e32 v1, 0
	s_add_u32 s6, s12, 8
	v_mov_b32_e32 v2, 0
	s_addc_u32 s7, s13, 0
	s_mov_b64 s[16:17], 1
	s_waitcnt lgkmcnt(0)
	s_add_u32 s14, s0, 8
	s_addc_u32 s15, s1, 0
.LBB0_2:                                ; =>This Inner Loop Header: Depth=1
	s_load_dwordx2 s[18:19], s[14:15], 0x0
                                        ; implicit-def: $vgpr7_vgpr8
	s_mov_b32 s0, exec_lo
	s_waitcnt lgkmcnt(0)
	v_or_b32_e32 v4, s19, v6
	v_cmpx_ne_u64_e32 0, v[3:4]
	s_xor_b32 s1, exec_lo, s0
	s_cbranch_execz .LBB0_4
; %bb.3:                                ;   in Loop: Header=BB0_2 Depth=1
	v_cvt_f32_u32_e32 v4, s18
	v_cvt_f32_u32_e32 v7, s19
	s_sub_u32 s0, 0, s18
	s_subb_u32 s20, 0, s19
	v_fmac_f32_e32 v4, 0x4f800000, v7
	v_rcp_f32_e32 v4, v4
	v_mul_f32_e32 v4, 0x5f7ffffc, v4
	v_mul_f32_e32 v7, 0x2f800000, v4
	v_trunc_f32_e32 v7, v7
	v_fmac_f32_e32 v4, 0xcf800000, v7
	v_cvt_u32_f32_e32 v7, v7
	v_cvt_u32_f32_e32 v4, v4
	v_mul_lo_u32 v8, s0, v7
	v_mul_hi_u32 v9, s0, v4
	v_mul_lo_u32 v10, s20, v4
	v_add_nc_u32_e32 v8, v9, v8
	v_mul_lo_u32 v9, s0, v4
	v_add_nc_u32_e32 v8, v8, v10
	v_mul_hi_u32 v10, v4, v9
	v_mul_lo_u32 v11, v4, v8
	v_mul_hi_u32 v12, v4, v8
	v_mul_hi_u32 v13, v7, v9
	v_mul_lo_u32 v9, v7, v9
	v_mul_hi_u32 v14, v7, v8
	v_mul_lo_u32 v8, v7, v8
	v_add_co_u32 v10, vcc_lo, v10, v11
	v_add_co_ci_u32_e32 v11, vcc_lo, 0, v12, vcc_lo
	v_add_co_u32 v9, vcc_lo, v10, v9
	v_add_co_ci_u32_e32 v9, vcc_lo, v11, v13, vcc_lo
	v_add_co_ci_u32_e32 v10, vcc_lo, 0, v14, vcc_lo
	v_add_co_u32 v8, vcc_lo, v9, v8
	v_add_co_ci_u32_e32 v9, vcc_lo, 0, v10, vcc_lo
	v_add_co_u32 v4, vcc_lo, v4, v8
	v_add_co_ci_u32_e32 v7, vcc_lo, v7, v9, vcc_lo
	v_mul_hi_u32 v8, s0, v4
	v_mul_lo_u32 v10, s20, v4
	v_mul_lo_u32 v9, s0, v7
	v_add_nc_u32_e32 v8, v8, v9
	v_mul_lo_u32 v9, s0, v4
	v_add_nc_u32_e32 v8, v8, v10
	v_mul_hi_u32 v10, v4, v9
	v_mul_lo_u32 v11, v4, v8
	v_mul_hi_u32 v12, v4, v8
	v_mul_hi_u32 v13, v7, v9
	v_mul_lo_u32 v9, v7, v9
	v_mul_hi_u32 v14, v7, v8
	v_mul_lo_u32 v8, v7, v8
	v_add_co_u32 v10, vcc_lo, v10, v11
	v_add_co_ci_u32_e32 v11, vcc_lo, 0, v12, vcc_lo
	v_add_co_u32 v9, vcc_lo, v10, v9
	v_add_co_ci_u32_e32 v9, vcc_lo, v11, v13, vcc_lo
	v_add_co_ci_u32_e32 v10, vcc_lo, 0, v14, vcc_lo
	v_add_co_u32 v8, vcc_lo, v9, v8
	v_add_co_ci_u32_e32 v9, vcc_lo, 0, v10, vcc_lo
	v_add_co_u32 v4, vcc_lo, v4, v8
	v_add_co_ci_u32_e32 v11, vcc_lo, v7, v9, vcc_lo
	v_mul_hi_u32 v13, v5, v4
	v_mad_u64_u32 v[9:10], null, v6, v4, 0
	v_mad_u64_u32 v[7:8], null, v5, v11, 0
	;; [unrolled: 1-line block ×3, first 2 shown]
	v_add_co_u32 v4, vcc_lo, v13, v7
	v_add_co_ci_u32_e32 v7, vcc_lo, 0, v8, vcc_lo
	v_add_co_u32 v4, vcc_lo, v4, v9
	v_add_co_ci_u32_e32 v4, vcc_lo, v7, v10, vcc_lo
	v_add_co_ci_u32_e32 v7, vcc_lo, 0, v12, vcc_lo
	v_add_co_u32 v4, vcc_lo, v4, v11
	v_add_co_ci_u32_e32 v9, vcc_lo, 0, v7, vcc_lo
	v_mul_lo_u32 v10, s19, v4
	v_mad_u64_u32 v[7:8], null, s18, v4, 0
	v_mul_lo_u32 v11, s18, v9
	v_sub_co_u32 v7, vcc_lo, v5, v7
	v_add3_u32 v8, v8, v11, v10
	v_sub_nc_u32_e32 v10, v6, v8
	v_subrev_co_ci_u32_e64 v10, s0, s19, v10, vcc_lo
	v_add_co_u32 v11, s0, v4, 2
	v_add_co_ci_u32_e64 v12, s0, 0, v9, s0
	v_sub_co_u32 v13, s0, v7, s18
	v_sub_co_ci_u32_e32 v8, vcc_lo, v6, v8, vcc_lo
	v_subrev_co_ci_u32_e64 v10, s0, 0, v10, s0
	v_cmp_le_u32_e32 vcc_lo, s18, v13
	v_cmp_eq_u32_e64 s0, s19, v8
	v_cndmask_b32_e64 v13, 0, -1, vcc_lo
	v_cmp_le_u32_e32 vcc_lo, s19, v10
	v_cndmask_b32_e64 v14, 0, -1, vcc_lo
	v_cmp_le_u32_e32 vcc_lo, s18, v7
	;; [unrolled: 2-line block ×3, first 2 shown]
	v_cndmask_b32_e64 v15, 0, -1, vcc_lo
	v_cmp_eq_u32_e32 vcc_lo, s19, v10
	v_cndmask_b32_e64 v7, v15, v7, s0
	v_cndmask_b32_e32 v10, v14, v13, vcc_lo
	v_add_co_u32 v13, vcc_lo, v4, 1
	v_add_co_ci_u32_e32 v14, vcc_lo, 0, v9, vcc_lo
	v_cmp_ne_u32_e32 vcc_lo, 0, v10
	v_cndmask_b32_e32 v8, v14, v12, vcc_lo
	v_cndmask_b32_e32 v10, v13, v11, vcc_lo
	v_cmp_ne_u32_e32 vcc_lo, 0, v7
	v_cndmask_b32_e32 v8, v9, v8, vcc_lo
	v_cndmask_b32_e32 v7, v4, v10, vcc_lo
.LBB0_4:                                ;   in Loop: Header=BB0_2 Depth=1
	s_andn2_saveexec_b32 s0, s1
	s_cbranch_execz .LBB0_6
; %bb.5:                                ;   in Loop: Header=BB0_2 Depth=1
	v_cvt_f32_u32_e32 v4, s18
	s_sub_i32 s1, 0, s18
	v_rcp_iflag_f32_e32 v4, v4
	v_mul_f32_e32 v4, 0x4f7ffffe, v4
	v_cvt_u32_f32_e32 v4, v4
	v_mul_lo_u32 v7, s1, v4
	v_mul_hi_u32 v7, v4, v7
	v_add_nc_u32_e32 v4, v4, v7
	v_mul_hi_u32 v4, v5, v4
	v_mul_lo_u32 v7, v4, s18
	v_add_nc_u32_e32 v8, 1, v4
	v_sub_nc_u32_e32 v7, v5, v7
	v_subrev_nc_u32_e32 v9, s18, v7
	v_cmp_le_u32_e32 vcc_lo, s18, v7
	v_cndmask_b32_e32 v7, v7, v9, vcc_lo
	v_cndmask_b32_e32 v4, v4, v8, vcc_lo
	v_cmp_le_u32_e32 vcc_lo, s18, v7
	v_add_nc_u32_e32 v8, 1, v4
	v_cndmask_b32_e32 v7, v4, v8, vcc_lo
	v_mov_b32_e32 v8, v3
.LBB0_6:                                ;   in Loop: Header=BB0_2 Depth=1
	s_or_b32 exec_lo, exec_lo, s0
	s_load_dwordx2 s[0:1], s[6:7], 0x0
	v_mul_lo_u32 v4, v8, s18
	v_mul_lo_u32 v11, v7, s19
	v_mad_u64_u32 v[9:10], null, v7, s18, 0
	s_add_u32 s16, s16, 1
	s_addc_u32 s17, s17, 0
	s_add_u32 s6, s6, 8
	s_addc_u32 s7, s7, 0
	;; [unrolled: 2-line block ×3, first 2 shown]
	v_add3_u32 v4, v10, v11, v4
	v_sub_co_u32 v5, vcc_lo, v5, v9
	v_sub_co_ci_u32_e32 v4, vcc_lo, v6, v4, vcc_lo
	s_waitcnt lgkmcnt(0)
	v_mul_lo_u32 v6, s1, v5
	v_mul_lo_u32 v4, s0, v4
	v_mad_u64_u32 v[1:2], null, s0, v5, v[1:2]
	v_cmp_ge_u64_e64 s0, s[16:17], s[10:11]
	s_and_b32 vcc_lo, exec_lo, s0
	v_add3_u32 v2, v6, v2, v4
	s_cbranch_vccnz .LBB0_9
; %bb.7:                                ;   in Loop: Header=BB0_2 Depth=1
	v_mov_b32_e32 v5, v7
	v_mov_b32_e32 v6, v8
	s_branch .LBB0_2
.LBB0_8:
	v_mov_b32_e32 v8, v6
	v_mov_b32_e32 v7, v5
.LBB0_9:
	s_lshl_b64 s[0:1], s[10:11], 3
	v_mul_hi_u32 v5, 0x1e573ad, v0
	s_add_u32 s0, s12, s0
	s_addc_u32 s1, s13, s1
                                        ; implicit-def: $vgpr10_vgpr11
                                        ; implicit-def: $vgpr22_vgpr23
                                        ; implicit-def: $vgpr26_vgpr27
                                        ; implicit-def: $vgpr34_vgpr35
                                        ; implicit-def: $vgpr14_vgpr15
                                        ; implicit-def: $vgpr30_vgpr31
                                        ; implicit-def: $vgpr38_vgpr39
                                        ; implicit-def: $vgpr18_vgpr19
	s_load_dwordx2 s[0:1], s[0:1], 0x0
	s_load_dwordx2 s[4:5], s[4:5], 0x20
	s_waitcnt lgkmcnt(0)
	v_mul_lo_u32 v3, s0, v8
	v_mul_lo_u32 v4, s1, v7
	v_mad_u64_u32 v[1:2], null, s0, v7, v[1:2]
	v_cmp_gt_u64_e32 vcc_lo, s[4:5], v[7:8]
                                        ; implicit-def: $vgpr6_vgpr7
	v_add3_u32 v2, v4, v2, v3
	v_mul_u32_u24_e32 v3, 0x87, v5
	v_lshlrev_b64 v[42:43], 4, v[1:2]
	v_sub_nc_u32_e32 v40, v0, v3
                                        ; implicit-def: $vgpr2_vgpr3
	s_and_saveexec_b32 s1, vcc_lo
	s_cbranch_execz .LBB0_11
; %bb.10:
	v_mov_b32_e32 v41, 0
	v_add_co_u32 v2, s0, s2, v42
	v_add_co_ci_u32_e64 v3, s0, s3, v43, s0
	v_lshlrev_b64 v[0:1], 4, v[40:41]
	v_add_co_u32 v0, s0, v2, v0
	v_add_co_ci_u32_e64 v1, s0, v3, v1, s0
	v_add_co_u32 v2, s0, 0x1000, v0
	v_add_co_ci_u32_e64 v3, s0, 0, v1, s0
	;; [unrolled: 2-line block ×4, first 2 shown]
	s_clause 0x3
	global_load_dwordx4 v[16:19], v[0:1], off
	global_load_dwordx4 v[36:39], v[2:3], off offset:224
	global_load_dwordx4 v[28:31], v[4:5], off offset:448
	;; [unrolled: 1-line block ×3, first 2 shown]
	v_add_co_u32 v2, s0, 0x4000, v0
	v_add_co_ci_u32_e64 v3, s0, 0, v1, s0
	v_add_co_u32 v8, s0, 0x800, v0
	v_add_co_ci_u32_e64 v9, s0, 0, v1, s0
	;; [unrolled: 2-line block ×6, first 2 shown]
	s_clause 0x5
	global_load_dwordx4 v[4:7], v[2:3], off offset:896
	global_load_dwordx4 v[32:35], v[8:9], off offset:112
	;; [unrolled: 1-line block ×6, first 2 shown]
.LBB0_11:
	s_or_b32 exec_lo, exec_lo, s1
	s_waitcnt vmcnt(8)
	v_add_f64 v[46:47], v[38:39], v[18:19]
	v_add_f64 v[44:45], v[36:37], v[16:17]
	s_waitcnt vmcnt(6)
	v_add_f64 v[48:49], v[12:13], v[28:29]
	s_waitcnt vmcnt(5)
	v_add_f64 v[50:51], v[4:5], v[36:37]
	v_add_f64 v[52:53], v[14:15], v[30:31]
	v_add_f64 v[54:55], v[6:7], v[38:39]
	v_add_f64 v[56:57], v[38:39], -v[6:7]
	v_add_f64 v[58:59], v[36:37], -v[28:29]
	;; [unrolled: 1-line block ×9, first 2 shown]
	s_waitcnt vmcnt(0)
	v_add_f64 v[76:77], v[0:1], v[24:25]
	v_add_f64 v[80:81], v[8:9], v[20:21]
	v_add_f64 v[72:73], v[14:15], -v[6:7]
	v_add_f64 v[74:75], v[24:25], -v[20:21]
	;; [unrolled: 1-line block ×3, first 2 shown]
	v_add_f64 v[88:89], v[24:25], v[32:33]
	v_add_f64 v[84:85], v[10:11], v[22:23]
	;; [unrolled: 1-line block ×4, first 2 shown]
	v_fma_f64 v[48:49], v[48:49], -0.5, v[16:17]
	v_fma_f64 v[16:17], v[50:51], -0.5, v[16:17]
	;; [unrolled: 1-line block ×4, first 2 shown]
	v_add_f64 v[50:51], v[22:23], -v[10:11]
	v_add_f64 v[86:87], v[2:3], v[26:27]
	s_mov_b32 s4, 0x134454ff
	s_mov_b32 s5, 0xbfee6f0e
	;; [unrolled: 1-line block ×4, first 2 shown]
	v_add_f64 v[54:55], v[66:67], v[58:59]
	v_add_f64 v[58:59], v[68:69], v[60:61]
	;; [unrolled: 1-line block ×3, first 2 shown]
	v_fma_f64 v[62:63], v[76:77], -0.5, v[32:33]
	v_fma_f64 v[32:33], v[80:81], -0.5, v[32:33]
	v_add_f64 v[36:37], v[36:37], -v[4:5]
	v_add_f64 v[28:29], v[28:29], -v[12:13]
	;; [unrolled: 1-line block ×4, first 2 shown]
	v_add_f64 v[66:67], v[78:79], v[74:75]
	v_add_f64 v[14:15], v[14:15], v[30:31]
	v_add_f64 v[30:31], v[26:27], -v[2:3]
	v_add_f64 v[12:13], v[12:13], v[44:45]
	v_fma_f64 v[44:45], v[56:57], s[4:5], v[48:49]
	v_fma_f64 v[68:69], v[64:65], s[6:7], v[16:17]
	;; [unrolled: 1-line block ×4, first 2 shown]
	v_add_f64 v[74:75], v[20:21], -v[8:9]
	v_add_f64 v[20:21], v[20:21], v[88:89]
	v_add_f64 v[38:39], v[72:73], v[38:39]
	v_fma_f64 v[70:71], v[84:85], -0.5, v[34:35]
	v_add_f64 v[72:73], v[26:27], v[34:35]
	v_fma_f64 v[34:35], v[86:87], -0.5, v[34:35]
	v_add_f64 v[24:25], v[24:25], -v[0:1]
	s_mov_b32 s12, 0x4755a5e
	v_fma_f64 v[76:77], v[50:51], s[6:7], v[62:63]
	v_fma_f64 v[62:63], v[50:51], s[4:5], v[62:63]
	s_mov_b32 s13, 0xbfe2cf23
	s_mov_b32 s11, 0x3fe2cf23
	;; [unrolled: 1-line block ×3, first 2 shown]
	v_add_f64 v[46:47], v[82:83], v[46:47]
	v_fma_f64 v[78:79], v[36:37], s[6:7], v[52:53]
	v_fma_f64 v[52:53], v[36:37], s[4:5], v[52:53]
	;; [unrolled: 1-line block ×10, first 2 shown]
	v_add_f64 v[8:9], v[8:9], v[20:21]
	v_add_f64 v[84:85], v[26:27], -v[22:23]
	v_add_f64 v[26:27], v[22:23], -v[26:27]
	v_fma_f64 v[90:91], v[74:75], s[4:5], v[34:35]
	v_fma_f64 v[34:35], v[74:75], s[6:7], v[34:35]
	v_add_f64 v[86:87], v[2:3], -v[10:11]
	v_fma_f64 v[56:57], v[30:31], s[12:13], v[76:77]
	v_fma_f64 v[30:31], v[30:31], s[10:11], v[62:63]
	v_add_f64 v[22:23], v[22:23], v[72:73]
	v_fma_f64 v[72:73], v[24:25], s[6:7], v[70:71]
	v_add_f64 v[88:89], v[10:11], -v[2:3]
	v_fma_f64 v[70:71], v[24:25], s[4:5], v[70:71]
	s_mov_b32 s14, 0x372fe950
	s_mov_b32 s15, 0x3fd3c6ef
	v_fma_f64 v[20:21], v[50:51], s[12:13], v[80:81]
	v_fma_f64 v[32:33], v[50:51], s[10:11], v[32:33]
	;; [unrolled: 1-line block ×7, first 2 shown]
	v_add_f64 v[4:5], v[4:5], v[12:13]
	v_fma_f64 v[44:45], v[58:59], s[14:15], v[68:69]
	v_fma_f64 v[12:13], v[58:59], s[14:15], v[16:17]
	;; [unrolled: 1-line block ×3, first 2 shown]
	v_add_f64 v[0:1], v[0:1], v[8:9]
	v_fma_f64 v[68:69], v[24:25], s[10:11], v[90:91]
	v_fma_f64 v[24:25], v[24:25], s[12:13], v[34:35]
	;; [unrolled: 1-line block ×3, first 2 shown]
	v_add_f64 v[50:51], v[86:87], v[84:85]
	v_add_f64 v[10:11], v[10:11], v[22:23]
	v_fma_f64 v[22:23], v[74:75], s[10:11], v[72:73]
	v_add_f64 v[26:27], v[88:89], v[26:27]
	v_fma_f64 v[64:65], v[74:75], s[12:13], v[70:71]
	v_mad_u32_u24 v56, v40, 40, 0
	ds_write2_b64 v56, v[4:5], v[36:37] offset1:1
	ds_write2_b64 v56, v[44:45], v[12:13] offset0:2 offset1:3
	v_fma_f64 v[8:9], v[66:67], s[14:15], v[20:21]
	v_fma_f64 v[20:21], v[46:47], s[14:15], v[30:31]
	;; [unrolled: 1-line block ×3, first 2 shown]
	v_add_nc_u32_e32 v4, 0x1518, v56
	v_and_b32_e32 v72, 0xff, v40
	v_add_nc_u32_e32 v5, 0x1528, v56
	ds_write_b64 v56, v[16:17] offset:32
	v_add_f64 v[6:7], v[6:7], v[14:15]
	v_fma_f64 v[46:47], v[60:61], s[14:15], v[62:63]
	v_fma_f64 v[48:49], v[38:39], s[14:15], v[52:53]
	;; [unrolled: 1-line block ×4, first 2 shown]
	ds_write2_b64 v4, v[0:1], v[8:9] offset1:1
	ds_write2_b64 v5, v[34:35], v[20:21] offset1:1
	ds_write_b64 v56, v[30:31] offset:5432
	v_mul_lo_u16 v0, 0xcd, v72
	v_add_f64 v[2:3], v[2:3], v[10:11]
	v_fma_f64 v[22:23], v[50:51], s[14:15], v[22:23]
	v_fma_f64 v[54:55], v[26:27], s[14:15], v[68:69]
	;; [unrolled: 1-line block ×3, first 2 shown]
	v_lshrrev_b16 v8, 10, v0
	v_fma_f64 v[50:51], v[50:51], s[14:15], v[64:65]
	v_lshlrev_b32_e32 v10, 5, v40
	s_waitcnt lgkmcnt(0)
	s_barrier
	v_mul_lo_u16 v0, v8, 5
	buffer_gl0_inv
	v_sub_nc_u32_e32 v41, v56, v10
	s_mov_b32 s16, 0x9b97f4a8
	s_mov_b32 s17, 0x3fe9e377
	v_sub_nc_u16 v99, v40, v0
	v_mov_b32_e32 v0, 9
	v_add_nc_u32_e32 v74, 0x800, v41
	v_add_nc_u32_e32 v73, 0x1000, v41
	;; [unrolled: 1-line block ×4, first 2 shown]
	v_mul_u32_u24_sdwa v0, v99, v0 dst_sel:DWORD dst_unused:UNUSED_PAD src0_sel:BYTE_0 src1_sel:DWORD
	ds_read2_b64 v[9:12], v41 offset1:135
	ds_read2_b64 v[13:16], v74 offset0:14 offset1:149
	ds_read2_b64 v[17:20], v73 offset0:28 offset1:163
	;; [unrolled: 1-line block ×4, first 2 shown]
	s_waitcnt lgkmcnt(0)
	s_barrier
	buffer_gl0_inv
	ds_write2_b64 v56, v[6:7], v[46:47] offset1:1
	ds_write2_b64 v56, v[48:49], v[52:53] offset0:2 offset1:3
	ds_write_b64 v56, v[28:29] offset:32
	ds_write2_b64 v4, v[2:3], v[22:23] offset1:1
	ds_write2_b64 v5, v[54:55], v[24:25] offset1:1
	v_lshlrev_b32_e32 v25, 4, v0
	ds_write_b64 v56, v[50:51] offset:5432
	s_waitcnt lgkmcnt(0)
	s_barrier
	buffer_gl0_inv
	s_clause 0x8
	global_load_dwordx4 v[0:3], v25, s[8:9] offset:32
	global_load_dwordx4 v[4:7], v25, s[8:9] offset:64
	global_load_dwordx4 v[21:24], v25, s[8:9] offset:96
	global_load_dwordx4 v[28:31], v25, s[8:9] offset:128
	global_load_dwordx4 v[44:47], v25, s[8:9] offset:16
	global_load_dwordx4 v[52:55], v25, s[8:9] offset:48
	global_load_dwordx4 v[48:51], v25, s[8:9]
	global_load_dwordx4 v[56:59], v25, s[8:9] offset:112
	global_load_dwordx4 v[60:63], v25, s[8:9] offset:80
	ds_read2_b64 v[64:67], v74 offset0:14 offset1:149
	ds_read2_b64 v[68:71], v73 offset0:28 offset1:163
	;; [unrolled: 1-line block ×4, first 2 shown]
	s_mov_b32 s1, 0xbfd3c6ef
	s_mov_b32 s0, s14
	;; [unrolled: 1-line block ×4, first 2 shown]
	s_waitcnt vmcnt(8) lgkmcnt(3)
	v_mul_f64 v[25:26], v[66:67], v[2:3]
	v_mul_f64 v[2:3], v[15:16], v[2:3]
	s_waitcnt vmcnt(7) lgkmcnt(2)
	v_mul_f64 v[83:84], v[70:71], v[6:7]
	v_mul_f64 v[6:7], v[19:20], v[6:7]
	;; [unrolled: 3-line block ×3, first 2 shown]
	v_fma_f64 v[15:16], v[15:16], v[0:1], v[25:26]
	v_fma_f64 v[24:25], v[66:67], v[0:1], -v[2:3]
	s_waitcnt vmcnt(5) lgkmcnt(0)
	v_mul_f64 v[66:67], v[81:82], v[30:31]
	v_mul_f64 v[30:31], v[38:39], v[30:31]
	ds_read2_b64 v[0:3], v41 offset1:135
	v_fma_f64 v[26:27], v[70:71], v[4:5], -v[6:7]
	v_fma_f64 v[34:35], v[34:35], v[21:22], v[85:86]
	v_fma_f64 v[6:7], v[77:78], v[21:22], -v[87:88]
	s_waitcnt vmcnt(4)
	v_mul_f64 v[21:22], v[64:65], v[46:47]
	v_fma_f64 v[19:20], v[19:20], v[4:5], v[83:84]
	s_waitcnt vmcnt(3)
	v_mul_f64 v[70:71], v[68:69], v[54:55]
	s_waitcnt vmcnt(0) lgkmcnt(0)
	s_barrier
	buffer_gl0_inv
	v_fma_f64 v[77:78], v[38:39], v[28:29], v[66:67]
	v_mul_f64 v[38:39], v[2:3], v[50:51]
	v_mul_f64 v[50:51], v[11:12], v[50:51]
	v_fma_f64 v[4:5], v[81:82], v[28:29], -v[30:31]
	v_fma_f64 v[30:31], v[13:14], v[44:45], v[21:22]
	v_mul_f64 v[13:14], v[13:14], v[46:47]
	v_mul_f64 v[21:22], v[79:80], v[58:59]
	;; [unrolled: 1-line block ×3, first 2 shown]
	v_fma_f64 v[28:29], v[17:18], v[52:53], v[70:71]
	v_mul_f64 v[17:18], v[17:18], v[54:55]
	v_add_f64 v[83:84], v[15:16], -v[19:20]
	v_add_f64 v[85:86], v[77:78], -v[34:35]
	v_fma_f64 v[11:12], v[11:12], v[48:49], v[38:39]
	v_fma_f64 v[2:3], v[2:3], v[48:49], -v[50:51]
	v_add_f64 v[38:39], v[26:27], v[6:7]
	v_add_f64 v[66:67], v[24:25], v[4:5]
	v_add_f64 v[70:71], v[6:7], -v[4:5]
	v_fma_f64 v[48:49], v[64:65], v[44:45], -v[13:14]
	v_fma_f64 v[54:55], v[36:37], v[56:57], v[21:22]
	v_mul_f64 v[21:22], v[36:37], v[58:59]
	v_fma_f64 v[50:51], v[32:33], v[60:61], v[46:47]
	v_add_f64 v[36:37], v[15:16], v[77:78]
	v_mul_f64 v[32:33], v[32:33], v[62:63]
	v_add_f64 v[58:59], v[19:20], v[34:35]
	v_add_f64 v[13:14], v[15:16], -v[77:78]
	v_add_f64 v[44:45], v[19:20], -v[34:35]
	v_fma_f64 v[52:53], v[68:69], v[52:53], -v[17:18]
	v_add_f64 v[68:69], v[26:27], -v[6:7]
	v_add_f64 v[83:84], v[83:84], v[85:86]
	v_add_f64 v[85:86], v[28:29], -v[30:31]
	v_fma_f64 v[62:63], v[38:39], -0.5, v[2:3]
	v_fma_f64 v[64:65], v[66:67], -0.5, v[2:3]
	v_add_f64 v[66:67], v[4:5], -v[6:7]
	v_fma_f64 v[38:39], v[79:80], v[56:57], -v[21:22]
	v_add_f64 v[17:18], v[28:29], v[50:51]
	v_add_f64 v[21:22], v[30:31], v[54:55]
	v_add_f64 v[56:57], v[24:25], -v[26:27]
	v_fma_f64 v[36:37], v[36:37], -0.5, v[11:12]
	v_fma_f64 v[46:47], v[75:76], v[60:61], -v[32:33]
	v_add_f64 v[32:33], v[24:25], -v[4:5]
	v_add_f64 v[60:61], v[26:27], -v[24:25]
	v_fma_f64 v[58:59], v[58:59], -0.5, v[11:12]
	v_add_f64 v[75:76], v[9:10], v[30:31]
	v_add_f64 v[11:12], v[11:12], v[15:16]
	v_add_f64 v[15:16], v[19:20], -v[15:16]
	v_add_f64 v[91:92], v[54:55], -v[50:51]
	v_fma_f64 v[79:80], v[13:14], s[6:7], v[62:63]
	v_fma_f64 v[81:82], v[44:45], s[4:5], v[64:65]
	;; [unrolled: 1-line block ×4, first 2 shown]
	v_add_f64 v[87:88], v[48:49], -v[38:39]
	v_fma_f64 v[17:18], v[17:18], -0.5, v[9:10]
	v_fma_f64 v[9:10], v[21:22], -0.5, v[9:10]
	v_add_f64 v[21:22], v[34:35], -v[77:78]
	v_add_f64 v[56:57], v[56:57], v[66:67]
	v_fma_f64 v[66:67], v[68:69], s[6:7], v[36:37]
	v_fma_f64 v[36:37], v[68:69], s[4:5], v[36:37]
	v_add_f64 v[60:61], v[60:61], v[70:71]
	v_fma_f64 v[70:71], v[32:33], s[4:5], v[58:59]
	v_add_f64 v[89:90], v[52:53], -v[46:47]
	v_fma_f64 v[58:59], v[32:33], s[6:7], v[58:59]
	v_add_f64 v[11:12], v[11:12], v[19:20]
	v_add_f64 v[75:76], v[75:76], v[28:29]
	v_add_f64 v[19:20], v[50:51], -v[54:55]
	v_fma_f64 v[79:80], v[44:45], s[10:11], v[79:80]
	v_fma_f64 v[81:82], v[13:14], s[10:11], v[81:82]
	;; [unrolled: 1-line block ×4, first 2 shown]
	v_add_f64 v[62:63], v[30:31], -v[28:29]
	v_add_f64 v[15:16], v[15:16], v[21:22]
	v_fma_f64 v[21:22], v[87:88], s[4:5], v[17:18]
	v_fma_f64 v[93:94], v[32:33], s[12:13], v[66:67]
	;; [unrolled: 1-line block ×8, first 2 shown]
	v_add_f64 v[11:12], v[11:12], v[34:35]
	v_add_f64 v[19:20], v[85:86], v[19:20]
	v_fma_f64 v[70:71], v[56:57], s[14:15], v[79:80]
	v_fma_f64 v[68:69], v[60:61], s[14:15], v[81:82]
	;; [unrolled: 1-line block ×4, first 2 shown]
	v_add_f64 v[13:14], v[62:63], v[91:92]
	v_add_f64 v[44:45], v[75:76], v[50:51]
	v_fma_f64 v[21:22], v[89:90], s[12:13], v[21:22]
	v_fma_f64 v[60:61], v[15:16], s[14:15], v[93:94]
	;; [unrolled: 1-line block ×8, first 2 shown]
	v_add_f64 v[11:12], v[11:12], v[77:78]
	v_mul_f64 v[15:16], v[70:71], s[12:13]
	v_mul_f64 v[32:33], v[68:69], s[4:5]
	;; [unrolled: 1-line block ×4, first 2 shown]
	v_add_f64 v[44:45], v[44:45], v[54:55]
	v_fma_f64 v[21:22], v[13:14], s[14:15], v[21:22]
	v_fma_f64 v[13:14], v[13:14], s[14:15], v[17:18]
	;; [unrolled: 1-line block ×8, first 2 shown]
	v_add_nc_u32_e32 v76, 0x1c00, v41
	v_add_f64 v[36:37], v[44:45], v[11:12]
	v_add_f64 v[11:12], v[44:45], -v[11:12]
	v_cmp_gt_u32_e64 s0, 45, v40
	v_add_f64 v[44:45], v[21:22], v[15:16]
	v_add_f64 v[77:78], v[34:35], v[17:18]
	;; [unrolled: 1-line block ×4, first 2 shown]
	v_add_f64 v[15:16], v[21:22], -v[15:16]
	v_add_f64 v[17:18], v[34:35], -v[17:18]
	;; [unrolled: 1-line block ×4, first 2 shown]
	v_mov_b32_e32 v13, 0x190
	v_mov_b32_e32 v14, 3
	v_mul_u32_u24_sdwa v8, v8, v13 dst_sel:DWORD dst_unused:UNUSED_PAD src0_sel:WORD_0 src1_sel:DWORD
	v_lshlrev_b32_sdwa v13, v14, v99 dst_sel:DWORD dst_unused:UNUSED_PAD src0_sel:DWORD src1_sel:BYTE_0
	v_add3_u32 v75, 0, v8, v13
	ds_write2_b64 v75, v[36:37], v[44:45] offset1:5
	ds_write2_b64 v75, v[77:78], v[79:80] offset0:10 offset1:15
	ds_write2_b64 v75, v[81:82], v[11:12] offset0:20 offset1:25
	;; [unrolled: 1-line block ×4, first 2 shown]
	s_waitcnt lgkmcnt(0)
	s_barrier
	buffer_gl0_inv
	ds_read_b64 v[34:35], v41 offset:9360
	ds_read2_b64 v[12:15], v41 offset1:135
	ds_read2_b64 v[8:11], v74 offset0:14 offset1:194
	ds_read2_b64 v[20:23], v76 offset0:4 offset1:139
	;; [unrolled: 1-line block ×3, first 2 shown]
                                        ; implicit-def: $vgpr36_vgpr37
                                        ; implicit-def: $vgpr44_vgpr45
	s_and_saveexec_b32 s1, s0
	s_cbranch_execz .LBB0_13
; %bb.12:
	ds_read_b64 v[32:33], v41 offset:3240
	ds_read_b64 v[44:45], v41 offset:6840
	ds_read_b64 v[36:37], v41 offset:10440
.LBB0_13:
	s_or_b32 exec_lo, exec_lo, s1
	v_add_f64 v[77:78], v[52:53], v[46:47]
	v_add_f64 v[79:80], v[48:49], v[38:39]
	;; [unrolled: 1-line block ×3, first 2 shown]
	v_add_f64 v[30:31], v[30:31], -v[54:55]
	v_add_f64 v[2:3], v[2:3], v[24:25]
	v_add_f64 v[24:25], v[28:29], -v[50:51]
	v_add_f64 v[50:51], v[48:49], -v[52:53]
	;; [unrolled: 1-line block ×4, first 2 shown]
	v_mul_f64 v[70:71], v[70:71], s[16:17]
	v_mul_f64 v[68:69], v[68:69], s[14:15]
	;; [unrolled: 1-line block ×4, first 2 shown]
	s_waitcnt lgkmcnt(0)
	s_barrier
	buffer_gl0_inv
	v_fma_f64 v[28:29], v[77:78], -0.5, v[0:1]
	v_fma_f64 v[0:1], v[79:80], -0.5, v[0:1]
	v_add_f64 v[52:53], v[81:82], v[52:53]
	v_add_f64 v[2:3], v[2:3], v[26:27]
	v_add_f64 v[26:27], v[46:47], -v[38:39]
	v_add_f64 v[50:51], v[50:51], v[54:55]
	v_fma_f64 v[77:78], v[30:31], s[6:7], v[28:29]
	v_fma_f64 v[79:80], v[24:25], s[4:5], v[0:1]
	;; [unrolled: 1-line block ×4, first 2 shown]
	v_add_f64 v[46:47], v[52:53], v[46:47]
	v_add_f64 v[2:3], v[2:3], v[6:7]
	;; [unrolled: 1-line block ×3, first 2 shown]
	v_fma_f64 v[52:53], v[62:63], s[6:7], -v[66:67]
	v_fma_f64 v[26:27], v[24:25], s[10:11], v[77:78]
	v_fma_f64 v[48:49], v[30:31], s[10:11], v[79:80]
	v_fma_f64 v[0:1], v[30:31], s[12:13], v[0:1]
	v_fma_f64 v[24:25], v[24:25], s[12:13], v[28:29]
	v_fma_f64 v[28:29], v[58:59], s[10:11], v[70:71]
	v_add_f64 v[38:39], v[46:47], v[38:39]
	v_add_f64 v[2:3], v[2:3], v[4:5]
	v_fma_f64 v[30:31], v[60:61], s[6:7], v[68:69]
	v_fma_f64 v[4:5], v[56:57], s[10:11], -v[64:65]
	v_fma_f64 v[26:27], v[50:51], s[14:15], v[26:27]
	v_fma_f64 v[46:47], v[6:7], s[14:15], v[48:49]
	;; [unrolled: 1-line block ×4, first 2 shown]
	v_add_f64 v[24:25], v[38:39], v[2:3]
	v_add_f64 v[2:3], v[38:39], -v[2:3]
	v_add_f64 v[48:49], v[26:27], v[28:29]
	v_add_f64 v[50:51], v[46:47], v[30:31]
	;; [unrolled: 1-line block ×4, first 2 shown]
	v_add_f64 v[26:27], v[26:27], -v[28:29]
	v_add_f64 v[28:29], v[46:47], -v[30:31]
	;; [unrolled: 1-line block ×4, first 2 shown]
                                        ; implicit-def: $vgpr46_vgpr47
	ds_write2_b64 v75, v[24:25], v[48:49] offset1:5
	ds_write2_b64 v75, v[50:51], v[54:55] offset0:10 offset1:15
	ds_write2_b64 v75, v[56:57], v[2:3] offset0:20 offset1:25
	;; [unrolled: 1-line block ×4, first 2 shown]
	s_waitcnt lgkmcnt(0)
	s_barrier
	buffer_gl0_inv
	ds_read2_b64 v[4:7], v41 offset1:135
	ds_read2_b64 v[0:3], v74 offset0:14 offset1:194
	ds_read2_b64 v[28:31], v76 offset0:4 offset1:139
	;; [unrolled: 1-line block ×3, first 2 shown]
	ds_read_b64 v[50:51], v41 offset:9360
                                        ; implicit-def: $vgpr48_vgpr49
	s_and_saveexec_b32 s1, s0
	s_cbranch_execz .LBB0_15
; %bb.14:
	ds_read_b64 v[38:39], v41 offset:3240
	ds_read_b64 v[48:49], v41 offset:6840
	;; [unrolled: 1-line block ×3, first 2 shown]
.LBB0_15:
	s_or_b32 exec_lo, exec_lo, s1
	v_mul_lo_u16 v52, v72, 41
	v_add_nc_u32_e32 v71, 0x87, v40
	v_mov_b32_e32 v64, 5
	v_mov_b32_e32 v60, 0x147b
	v_add_nc_u32_e32 v70, 0x195, v40
	v_lshrrev_b16 v95, 11, v52
	v_add_nc_u32_e32 v72, 0x10e, v40
	s_mov_b32 s4, 0xe8584caa
	s_mov_b32 s5, 0xbfebb67a
	v_lshrrev_b16 v73, 1, v70
	v_mul_lo_u16 v52, v95, 50
	v_lshrrev_b16 v74, 1, v72
	s_mov_b32 s7, 0x3febb67a
	s_mov_b32 s6, s4
	v_mul_u32_u24_sdwa v62, v73, v60 dst_sel:DWORD dst_unused:UNUSED_PAD src0_sel:WORD_0 src1_sel:DWORD
	v_sub_nc_u16 v96, v40, v52
	v_lshrrev_b16 v52, 1, v71
	v_lshrrev_b32_e32 v62, 17, v62
	v_lshlrev_b32_sdwa v61, v64, v96 dst_sel:DWORD dst_unused:UNUSED_PAD src0_sel:DWORD src1_sel:BYTE_0
	v_mul_u32_u24_sdwa v56, v52, v60 dst_sel:DWORD dst_unused:UNUSED_PAD src0_sel:WORD_0 src1_sel:DWORD
	v_mul_u32_u24_sdwa v60, v74, v60 dst_sel:DWORD dst_unused:UNUSED_PAD src0_sel:WORD_0 src1_sel:DWORD
	v_mul_lo_u16 v66, v62, 50
	global_load_dwordx4 v[52:55], v61, s[8:9] offset:736
	v_lshrrev_b32_e32 v97, 17, v56
	v_lshrrev_b32_e32 v99, 17, v60
	v_sub_nc_u16 v66, v70, v66
	v_mul_lo_u16 v56, v97, 50
	v_mul_lo_u16 v67, v99, 50
	v_and_b32_e32 v101, 0xffff, v66
	v_sub_nc_u16 v98, v71, v56
	v_sub_nc_u16 v100, v72, v67
	v_lshlrev_b32_sdwa v65, v64, v98 dst_sel:DWORD dst_unused:UNUSED_PAD src0_sel:DWORD src1_sel:WORD_0
	v_lshlrev_b32_sdwa v64, v64, v100 dst_sel:DWORD dst_unused:UNUSED_PAD src0_sel:DWORD src1_sel:WORD_0
	s_clause 0x2
	global_load_dwordx4 v[56:59], v65, s[8:9] offset:736
	global_load_dwordx4 v[60:63], v61, s[8:9] offset:720
	;; [unrolled: 1-line block ×3, first 2 shown]
	v_lshlrev_b32_e32 v65, 5, v101
	s_clause 0x3
	global_load_dwordx4 v[79:82], v64, s[8:9] offset:720
	global_load_dwordx4 v[83:86], v64, s[8:9] offset:736
	;; [unrolled: 1-line block ×4, first 2 shown]
	s_waitcnt vmcnt(0) lgkmcnt(0)
	s_barrier
	buffer_gl0_inv
	v_mul_f64 v[64:65], v[28:29], v[54:55]
	v_mul_f64 v[66:67], v[20:21], v[54:55]
	v_fma_f64 v[54:55], v[20:21], v[52:53], v[64:65]
	v_mul_f64 v[20:21], v[30:31], v[58:59]
	v_fma_f64 v[28:29], v[28:29], v[52:53], -v[66:67]
	v_mul_f64 v[58:59], v[22:23], v[58:59]
	v_mul_f64 v[66:67], v[50:51], v[85:86]
	;; [unrolled: 1-line block ×3, first 2 shown]
	v_fma_f64 v[52:53], v[22:23], v[56:57], v[20:21]
	v_mul_f64 v[20:21], v[2:3], v[62:63]
	v_mul_f64 v[22:23], v[10:11], v[62:63]
	v_fma_f64 v[30:31], v[30:31], v[56:57], -v[58:59]
	v_mul_f64 v[58:59], v[24:25], v[77:78]
	v_mul_f64 v[62:63], v[26:27], v[81:82]
	v_fma_f64 v[56:57], v[10:11], v[60:61], v[20:21]
	v_mul_f64 v[10:11], v[46:47], v[93:94]
	v_fma_f64 v[64:65], v[2:3], v[60:61], -v[22:23]
	v_mul_f64 v[20:21], v[16:17], v[77:78]
	v_fma_f64 v[58:59], v[16:17], v[75:76], v[58:59]
	v_fma_f64 v[2:3], v[18:19], v[79:80], v[62:63]
	v_mul_f64 v[16:17], v[18:19], v[81:82]
	v_mul_f64 v[18:19], v[34:35], v[85:86]
	v_fma_f64 v[62:63], v[34:35], v[83:84], v[66:67]
	v_mul_f64 v[22:23], v[44:45], v[89:90]
	v_fma_f64 v[60:61], v[44:45], v[87:88], v[68:69]
	;; [unrolled: 2-line block ×3, first 2 shown]
	v_add_f64 v[10:11], v[56:57], v[54:55]
	v_fma_f64 v[68:69], v[24:25], v[75:76], -v[20:21]
	v_add_f64 v[36:37], v[14:15], v[58:59]
	v_add_f64 v[44:45], v[8:9], v[2:3]
	v_fma_f64 v[26:27], v[26:27], v[79:80], -v[16:17]
	v_fma_f64 v[24:25], v[50:51], v[83:84], -v[18:19]
	v_add_f64 v[16:17], v[58:59], v[52:53]
	v_fma_f64 v[48:49], v[48:49], v[87:88], -v[22:23]
	v_add_f64 v[18:19], v[2:3], v[62:63]
	;; [unrolled: 2-line block ×3, first 2 shown]
	v_add_f64 v[34:35], v[64:65], -v[28:29]
	v_add_f64 v[50:51], v[32:33], v[60:61]
	v_mov_b32_e32 v75, 0x4b0
	v_mov_b32_e32 v76, 3
	v_add_f64 v[20:21], v[60:61], v[66:67]
	v_fma_f64 v[10:11], v[10:11], -0.5, v[12:13]
	v_add_f64 v[12:13], v[68:69], -v[30:31]
	v_add_f64 v[77:78], v[36:37], v[52:53]
	v_add_f64 v[44:45], v[44:45], v[62:63]
	v_fma_f64 v[14:15], v[16:17], -0.5, v[14:15]
	v_add_f64 v[16:17], v[26:27], -v[24:25]
	v_fma_f64 v[8:9], v[18:19], -0.5, v[8:9]
	v_add_f64 v[18:19], v[48:49], -v[46:47]
	v_add_f64 v[22:23], v[22:23], v[54:55]
	v_fma_f64 v[20:21], v[20:21], -0.5, v[32:33]
	v_add_f64 v[32:33], v[50:51], v[66:67]
	v_fma_f64 v[79:80], v[34:35], s[4:5], v[10:11]
	v_fma_f64 v[10:11], v[34:35], s[6:7], v[10:11]
	v_lshl_add_u32 v51, v101, 3, 0
	v_fma_f64 v[81:82], v[12:13], s[4:5], v[14:15]
	v_fma_f64 v[12:13], v[12:13], s[6:7], v[14:15]
	;; [unrolled: 1-line block ×4, first 2 shown]
	v_mul_u32_u24_sdwa v16, v95, v75 dst_sel:DWORD dst_unused:UNUSED_PAD src0_sel:WORD_0 src1_sel:DWORD
	v_lshlrev_b32_sdwa v17, v76, v96 dst_sel:DWORD dst_unused:UNUSED_PAD src0_sel:DWORD src1_sel:BYTE_0
	v_add3_u32 v50, 0, v16, v17
	v_mul_u32_u24_e32 v16, 0x4b0, v97
	v_lshlrev_b32_sdwa v17, v76, v98 dst_sel:DWORD dst_unused:UNUSED_PAD src0_sel:DWORD src1_sel:WORD_0
	v_fma_f64 v[34:35], v[18:19], s[4:5], v[20:21]
	v_fma_f64 v[36:37], v[18:19], s[6:7], v[20:21]
	v_mul_u32_u24_e32 v18, 0x4b0, v99
	v_lshlrev_b32_sdwa v19, v76, v100 dst_sel:DWORD dst_unused:UNUSED_PAD src0_sel:DWORD src1_sel:WORD_0
	v_add3_u32 v75, 0, v16, v17
	ds_write2_b64 v50, v[22:23], v[79:80] offset1:50
	ds_write_b64 v50, v[10:11] offset:800
	v_add3_u32 v76, 0, v18, v19
	ds_write2_b64 v75, v[77:78], v[81:82] offset1:50
	ds_write_b64 v75, v[12:13] offset:800
	ds_write2_b64 v76, v[44:45], v[14:15] offset1:50
	ds_write_b64 v76, v[8:9] offset:800
	s_and_saveexec_b32 s1, s0
	s_cbranch_execz .LBB0_17
; %bb.16:
	v_add_nc_u32_e32 v8, 0x2000, v51
	ds_write2_b64 v8, v[32:33], v[34:35] offset0:176 offset1:226
	ds_write_b64 v51, v[36:37] offset:10400
.LBB0_17:
	s_or_b32 exec_lo, exec_lo, s1
	v_add_nc_u32_e32 v8, 0x800, v41
	v_add_nc_u32_e32 v16, 0x1c00, v41
	;; [unrolled: 1-line block ×3, first 2 shown]
	s_waitcnt lgkmcnt(0)
	s_barrier
	buffer_gl0_inv
	ds_read2_b64 v[12:15], v41 offset1:135
	ds_read2_b64 v[8:11], v8 offset0:14 offset1:194
	ds_read2_b64 v[20:23], v16 offset0:4 offset1:139
	;; [unrolled: 1-line block ×3, first 2 shown]
	ds_read_b64 v[44:45], v41 offset:9360
	s_and_saveexec_b32 s1, s0
	s_cbranch_execz .LBB0_19
; %bb.18:
	ds_read_b64 v[32:33], v41 offset:3240
	ds_read_b64 v[34:35], v41 offset:6840
	;; [unrolled: 1-line block ×3, first 2 shown]
.LBB0_19:
	s_or_b32 exec_lo, exec_lo, s1
	v_add_f64 v[77:78], v[64:65], v[28:29]
	v_add_f64 v[83:84], v[48:49], v[46:47]
	;; [unrolled: 1-line block ×5, first 2 shown]
	v_add_f64 v[54:55], v[56:57], -v[54:55]
	v_add_f64 v[26:27], v[0:1], v[26:27]
	v_add_f64 v[48:49], v[38:39], v[48:49]
	v_add_f64 v[52:53], v[58:59], -v[52:53]
	v_add_f64 v[58:59], v[60:61], -v[66:67]
	v_add_f64 v[56:57], v[6:7], v[68:69]
	v_add_f64 v[2:3], v[2:3], -v[62:63]
	s_mov_b32 s4, 0xe8584caa
	s_mov_b32 s5, 0x3febb67a
	;; [unrolled: 1-line block ×4, first 2 shown]
	s_waitcnt lgkmcnt(0)
	s_barrier
	buffer_gl0_inv
	v_fma_f64 v[4:5], v[77:78], -0.5, v[4:5]
	v_fma_f64 v[60:61], v[83:84], -0.5, v[38:39]
	;; [unrolled: 1-line block ×4, first 2 shown]
	v_add_f64 v[28:29], v[64:65], v[28:29]
	v_add_f64 v[24:25], v[26:27], v[24:25]
	;; [unrolled: 1-line block ×4, first 2 shown]
	v_fma_f64 v[26:27], v[54:55], s[4:5], v[4:5]
	v_fma_f64 v[48:49], v[58:59], s[4:5], v[60:61]
	;; [unrolled: 1-line block ×8, first 2 shown]
	ds_write2_b64 v50, v[28:29], v[26:27] offset1:50
	ds_write_b64 v50, v[4:5] offset:800
	ds_write2_b64 v75, v[30:31], v[54:55] offset1:50
	ds_write_b64 v75, v[6:7] offset:800
	;; [unrolled: 2-line block ×3, first 2 shown]
	s_and_saveexec_b32 s1, s0
	s_cbranch_execz .LBB0_21
; %bb.20:
	v_add_nc_u32_e32 v0, 0x2000, v51
	ds_write2_b64 v0, v[38:39], v[48:49] offset0:176 offset1:226
	ds_write_b64 v51, v[46:47] offset:10400
.LBB0_21:
	s_or_b32 exec_lo, exec_lo, s1
	v_add_nc_u32_e32 v0, 0x800, v41
	v_add_nc_u32_e32 v24, 0x1c00, v41
	;; [unrolled: 1-line block ×3, first 2 shown]
	s_waitcnt lgkmcnt(0)
	s_barrier
	buffer_gl0_inv
	ds_read2_b64 v[4:7], v41 offset1:135
	ds_read2_b64 v[0:3], v0 offset0:14 offset1:194
	ds_read2_b64 v[28:31], v24 offset0:4 offset1:139
	;; [unrolled: 1-line block ×3, first 2 shown]
	ds_read_b64 v[50:51], v41 offset:9360
	s_and_saveexec_b32 s1, s0
	s_cbranch_execz .LBB0_23
; %bb.22:
	ds_read_b64 v[38:39], v41 offset:3240
	ds_read_b64 v[48:49], v41 offset:6840
	;; [unrolled: 1-line block ×3, first 2 shown]
.LBB0_23:
	s_or_b32 exec_lo, exec_lo, s1
	v_add_nc_u32_e32 v54, -15, v40
	v_cmp_gt_u32_e64 s1, 15, v40
	v_lshlrev_b32_e32 v52, 1, v40
	v_mov_b32_e32 v53, 0
	v_mov_b32_e32 v56, 0xda75
	;; [unrolled: 1-line block ×3, first 2 shown]
	v_cndmask_b32_e64 v109, v54, v71, s1
	s_mov_b32 s4, 0xe8584caa
	v_lshlrev_b64 v[54:55], 4, v[52:53]
	v_mul_u32_u24_sdwa v57, v74, v56 dst_sel:DWORD dst_unused:UNUSED_PAD src0_sel:WORD_0 src1_sel:DWORD
	v_mul_u32_u24_sdwa v56, v73, v56 dst_sel:DWORD dst_unused:UNUSED_PAD src0_sel:WORD_0 src1_sel:DWORD
	v_lshlrev_b32_e32 v52, 1, v109
	s_mov_b32 s5, 0xbfebb67a
	s_mov_b32 s7, 0x3febb67a
	v_add_co_u32 v68, s1, s8, v54
	v_add_co_ci_u32_e64 v69, s1, s9, v55, s1
	v_lshlrev_b64 v[52:53], 4, v[52:53]
	v_lshrrev_b32_e32 v110, 22, v57
	v_add_co_u32 v54, s1, 0x910, v68
	v_lshrrev_b32_e32 v56, 22, v56
	v_add_co_ci_u32_e64 v55, s1, 0, v69, s1
	v_mul_lo_u16 v57, 0x96, v110
	v_add_co_u32 v58, s1, s8, v52
	v_add_co_ci_u32_e64 v59, s1, s9, v53, s1
	v_mul_lo_u16 v56, 0x96, v56
	v_add_co_u32 v52, s1, 0x800, v68
	v_sub_nc_u16 v111, v72, v57
	v_add_co_ci_u32_e64 v53, s1, 0, v69, s1
	v_sub_nc_u16 v61, v70, v56
	v_add_co_u32 v56, s1, 0x910, v58
	s_clause 0x1
	global_load_dwordx4 v[73:76], v[54:55], off offset:16
	global_load_dwordx4 v[77:80], v[52:53], off offset:272
	v_lshlrev_b32_sdwa v54, v60, v111 dst_sel:DWORD dst_unused:UNUSED_PAD src0_sel:DWORD src1_sel:WORD_0
	v_add_co_ci_u32_e64 v57, s1, 0, v59, s1
	v_add_co_u32 v52, s1, 0x800, v58
	v_add_co_ci_u32_e64 v53, s1, 0, v59, s1
	v_add_co_u32 v54, s1, s8, v54
	v_and_b32_e32 v112, 0xffff, v61
	v_add_co_ci_u32_e64 v55, null, s9, 0, s1
	s_clause 0x1
	global_load_dwordx4 v[81:84], v[56:57], off offset:16
	global_load_dwordx4 v[85:88], v[52:53], off offset:272
	v_add_co_u32 v52, s1, 0x800, v54
	v_lshlrev_b32_e32 v58, 5, v112
	v_add_co_ci_u32_e64 v53, s1, 0, v55, s1
	v_add_co_u32 v54, s1, 0x910, v54
	v_add_co_ci_u32_e64 v55, s1, 0, v55, s1
	v_add_co_u32 v56, s1, s8, v58
	v_add_co_ci_u32_e64 v57, null, s9, 0, s1
	global_load_dwordx4 v[89:92], v[52:53], off offset:272
	v_add_co_u32 v52, s1, 0x800, v56
	v_add_co_ci_u32_e64 v53, s1, 0, v57, s1
	v_add_co_u32 v56, s1, 0x910, v56
	v_add_co_ci_u32_e64 v57, s1, 0, v57, s1
	s_clause 0x2
	global_load_dwordx4 v[93:96], v[54:55], off offset:16
	global_load_dwordx4 v[97:100], v[52:53], off offset:272
	;; [unrolled: 1-line block ×3, first 2 shown]
	s_mov_b32 s6, s4
	v_cmp_lt_u32_e64 s1, 14, v40
	s_waitcnt vmcnt(0) lgkmcnt(0)
	s_barrier
	buffer_gl0_inv
	v_mul_f64 v[52:53], v[28:29], v[75:76]
	v_mul_f64 v[58:59], v[2:3], v[79:80]
	;; [unrolled: 1-line block ×7, first 2 shown]
	v_fma_f64 v[56:57], v[20:21], v[73:74], v[52:53]
	v_mul_f64 v[20:21], v[16:17], v[87:88]
	v_fma_f64 v[60:61], v[10:11], v[77:78], v[58:59]
	v_fma_f64 v[28:29], v[28:29], v[73:74], -v[75:76]
	v_mul_f64 v[64:65], v[26:27], v[91:92]
	v_fma_f64 v[52:53], v[22:23], v[81:82], v[54:55]
	v_mul_f64 v[66:67], v[50:51], v[95:96]
	v_mul_f64 v[105:106], v[48:49], v[99:100]
	;; [unrolled: 1-line block ×4, first 2 shown]
	v_fma_f64 v[58:59], v[16:17], v[85:86], v[62:63]
	v_mul_f64 v[10:11], v[44:45], v[95:96]
	v_mul_f64 v[16:17], v[34:35], v[99:100]
	v_fma_f64 v[54:55], v[18:19], v[89:90], v[64:65]
	v_mul_f64 v[18:19], v[36:37], v[103:104]
	v_fma_f64 v[44:45], v[44:45], v[93:94], v[66:67]
	v_fma_f64 v[62:63], v[34:35], v[97:98], v[105:106]
	;; [unrolled: 1-line block ×3, first 2 shown]
	v_fma_f64 v[66:67], v[2:3], v[77:78], -v[79:80]
	v_fma_f64 v[2:3], v[30:31], v[81:82], -v[83:84]
	;; [unrolled: 1-line block ×3, first 2 shown]
	v_add_f64 v[20:21], v[60:61], v[56:57]
	v_fma_f64 v[24:25], v[50:51], v[93:94], -v[10:11]
	v_add_f64 v[10:11], v[58:59], v[52:53]
	v_fma_f64 v[50:51], v[48:49], v[97:98], -v[16:17]
	v_fma_f64 v[26:27], v[26:27], v[89:90], -v[22:23]
	v_add_f64 v[22:23], v[12:13], v[60:61]
	v_add_f64 v[36:37], v[14:15], v[58:59]
	;; [unrolled: 1-line block ×3, first 2 shown]
	v_fma_f64 v[46:47], v[46:47], v[101:102], -v[18:19]
	v_add_f64 v[16:17], v[54:55], v[44:45]
	v_add_f64 v[73:74], v[32:33], v[62:63]
	;; [unrolled: 1-line block ×3, first 2 shown]
	v_add_f64 v[34:35], v[66:67], -v[28:29]
	v_fma_f64 v[12:13], v[20:21], -0.5, v[12:13]
	v_add_f64 v[20:21], v[30:31], -v[2:3]
	v_fma_f64 v[10:11], v[10:11], -0.5, v[14:15]
	v_add_f64 v[14:15], v[26:27], -v[24:25]
	v_add_f64 v[22:23], v[22:23], v[56:57]
	v_add_f64 v[76:77], v[36:37], v[52:53]
	;; [unrolled: 1-line block ×3, first 2 shown]
	v_fma_f64 v[8:9], v[16:17], -0.5, v[8:9]
	v_add_f64 v[16:17], v[50:51], -v[46:47]
	v_fma_f64 v[18:19], v[18:19], -0.5, v[32:33]
	v_add_f64 v[32:33], v[73:74], v[64:65]
	v_lshl_add_u32 v73, v112, 3, 0
	v_fma_f64 v[78:79], v[34:35], s[4:5], v[12:13]
	v_fma_f64 v[12:13], v[34:35], s[6:7], v[12:13]
	;; [unrolled: 1-line block ×8, first 2 shown]
	v_mov_b32_e32 v14, 3
	v_cndmask_b32_e64 v15, 0, 0xe10, s1
	v_lshlrev_b32_e32 v16, 3, v109
	v_mul_u32_u24_e32 v17, 0xe10, v110
	ds_write2_b64 v41, v[22:23], v[78:79] offset1:150
	v_lshlrev_b32_sdwa v14, v14, v111 dst_sel:DWORD dst_unused:UNUSED_PAD src0_sel:DWORD src1_sel:WORD_0
	ds_write_b64 v41, v[12:13] offset:2400
	v_add3_u32 v74, 0, v15, v16
	v_add3_u32 v75, 0, v17, v14
	ds_write2_b64 v74, v[76:77], v[80:81] offset1:150
	ds_write_b64 v74, v[10:11] offset:2400
	ds_write2_b64 v75, v[48:49], v[20:21] offset1:150
	ds_write_b64 v75, v[8:9] offset:2400
	s_and_saveexec_b32 s1, s0
	s_cbranch_execz .LBB0_25
; %bb.24:
	v_add_nc_u32_e32 v8, 0x1c00, v73
	ds_write2_b64 v8, v[32:33], v[34:35] offset0:4 offset1:154
	ds_write_b64 v73, v[36:37] offset:9600
.LBB0_25:
	s_or_b32 exec_lo, exec_lo, s1
	v_add_nc_u32_e32 v12, 0x800, v41
	v_add_nc_u32_e32 v16, 0x1c00, v41
	;; [unrolled: 1-line block ×3, first 2 shown]
	s_waitcnt lgkmcnt(0)
	s_barrier
	buffer_gl0_inv
	ds_read2_b64 v[8:11], v41 offset1:135
	ds_read2_b64 v[12:15], v12 offset0:14 offset1:194
	ds_read2_b64 v[16:19], v16 offset0:4 offset1:139
	;; [unrolled: 1-line block ×3, first 2 shown]
	ds_read_b64 v[48:49], v41 offset:9360
	s_and_saveexec_b32 s1, s0
	s_cbranch_execz .LBB0_27
; %bb.26:
	ds_read_b64 v[32:33], v41 offset:3240
	ds_read_b64 v[34:35], v41 offset:6840
	;; [unrolled: 1-line block ×3, first 2 shown]
.LBB0_27:
	s_or_b32 exec_lo, exec_lo, s1
	v_add_f64 v[76:77], v[66:67], v[28:29]
	v_add_f64 v[80:81], v[26:27], v[24:25]
	;; [unrolled: 1-line block ×5, first 2 shown]
	v_add_f64 v[56:57], v[60:61], -v[56:57]
	v_add_f64 v[26:27], v[0:1], v[26:27]
	v_add_f64 v[50:51], v[38:39], v[50:51]
	v_add_f64 v[52:53], v[58:59], -v[52:53]
	v_add_f64 v[44:45], v[54:55], -v[44:45]
	;; [unrolled: 1-line block ×3, first 2 shown]
	v_add_f64 v[30:31], v[6:7], v[30:31]
	s_mov_b32 s4, 0xe8584caa
	s_mov_b32 s5, 0x3febb67a
	;; [unrolled: 1-line block ×4, first 2 shown]
	s_waitcnt lgkmcnt(0)
	s_barrier
	buffer_gl0_inv
	v_fma_f64 v[4:5], v[76:77], -0.5, v[4:5]
	v_fma_f64 v[0:1], v[80:81], -0.5, v[0:1]
	v_fma_f64 v[58:59], v[82:83], -0.5, v[38:39]
	v_fma_f64 v[6:7], v[78:79], -0.5, v[6:7]
	v_add_f64 v[28:29], v[66:67], v[28:29]
	v_add_f64 v[24:25], v[26:27], v[24:25]
	;; [unrolled: 1-line block ×4, first 2 shown]
	v_fma_f64 v[26:27], v[56:57], s[4:5], v[4:5]
	v_fma_f64 v[50:51], v[44:45], s[4:5], v[0:1]
	;; [unrolled: 1-line block ×8, first 2 shown]
	ds_write2_b64 v41, v[28:29], v[26:27] offset1:150
	ds_write_b64 v41, v[4:5] offset:2400
	ds_write2_b64 v74, v[2:3], v[30:31] offset1:150
	ds_write_b64 v74, v[6:7] offset:2400
	;; [unrolled: 2-line block ×3, first 2 shown]
	s_and_saveexec_b32 s1, s0
	s_cbranch_execz .LBB0_29
; %bb.28:
	v_add_nc_u32_e32 v0, 0x1c00, v73
	ds_write2_b64 v0, v[38:39], v[44:45] offset0:4 offset1:154
	ds_write_b64 v73, v[46:47] offset:9600
.LBB0_29:
	s_or_b32 exec_lo, exec_lo, s1
	v_add_nc_u32_e32 v4, 0x800, v41
	v_add_nc_u32_e32 v24, 0x1c00, v41
	;; [unrolled: 1-line block ×3, first 2 shown]
	s_waitcnt lgkmcnt(0)
	s_barrier
	buffer_gl0_inv
	ds_read2_b64 v[0:3], v41 offset1:135
	ds_read2_b64 v[4:7], v4 offset0:14 offset1:194
	ds_read2_b64 v[24:27], v24 offset0:4 offset1:139
	;; [unrolled: 1-line block ×3, first 2 shown]
	ds_read_b64 v[52:53], v41 offset:9360
	s_and_saveexec_b32 s1, s0
	s_cbranch_execz .LBB0_31
; %bb.30:
	ds_read_b64 v[38:39], v41 offset:3240
	ds_read_b64 v[44:45], v41 offset:6840
	;; [unrolled: 1-line block ×3, first 2 shown]
.LBB0_31:
	s_or_b32 exec_lo, exec_lo, s1
	s_and_saveexec_b32 s1, vcc_lo
	s_cbranch_execz .LBB0_34
; %bb.32:
	v_lshlrev_b32_e32 v50, 1, v72
	v_mov_b32_e32 v51, 0
	v_mul_hi_u32 v95, 0x91a2b3c5, v72
	s_mov_b32 s4, 0xe8584caa
	s_mov_b32 s5, 0xbfebb67a
	;; [unrolled: 1-line block ×3, first 2 shown]
	v_lshlrev_b64 v[54:55], 4, v[50:51]
	v_lshlrev_b32_e32 v50, 1, v71
	s_mov_b32 s6, s4
	v_add_co_u32 v41, vcc_lo, s8, v54
	v_add_co_ci_u32_e32 v56, vcc_lo, s9, v55, vcc_lo
	v_lshlrev_b64 v[54:55], 4, v[50:51]
	v_add_co_u32 v66, vcc_lo, 0x1bd0, v41
	v_add_co_ci_u32_e32 v67, vcc_lo, 0, v56, vcc_lo
	v_add_co_u32 v62, vcc_lo, 0x1800, v41
	v_add_co_ci_u32_e32 v63, vcc_lo, 0, v56, vcc_lo
	;; [unrolled: 2-line block ×6, first 2 shown]
	v_add_co_u32 v73, vcc_lo, 0x1800, v41
	s_clause 0x1
	global_load_dwordx4 v[54:57], v[54:55], off offset:976
	global_load_dwordx4 v[58:61], v[58:59], off offset:16
	v_add_co_ci_u32_e32 v74, vcc_lo, 0, v50, vcc_lo
	s_clause 0x3
	global_load_dwordx4 v[62:65], v[62:63], off offset:976
	global_load_dwordx4 v[66:69], v[66:67], off offset:16
	;; [unrolled: 1-line block ×4, first 2 shown]
	v_add_co_u32 v93, vcc_lo, s2, v42
	v_add_co_ci_u32_e32 v94, vcc_lo, s3, v43, vcc_lo
	v_mul_hi_u32 v50, 0x91a2b3c5, v71
	v_mov_b32_e32 v41, v51
	s_waitcnt vmcnt(5)
	v_mul_f64 v[81:82], v[14:15], v[56:57]
	s_waitcnt vmcnt(4)
	v_mul_f64 v[83:84], v[16:17], v[60:61]
	s_waitcnt lgkmcnt(3)
	v_mul_f64 v[56:57], v[6:7], v[56:57]
	s_waitcnt lgkmcnt(2)
	v_mul_f64 v[60:61], v[24:25], v[60:61]
	s_waitcnt vmcnt(3)
	v_mul_f64 v[85:86], v[22:23], v[64:65]
	s_waitcnt vmcnt(2)
	v_mul_f64 v[87:88], v[48:49], v[68:69]
	s_waitcnt lgkmcnt(1)
	v_mul_f64 v[64:65], v[30:31], v[64:65]
	s_waitcnt lgkmcnt(0)
	v_mul_f64 v[68:69], v[52:53], v[68:69]
	s_waitcnt vmcnt(1)
	v_mul_f64 v[89:90], v[20:21], v[75:76]
	s_waitcnt vmcnt(0)
	v_mul_f64 v[91:92], v[18:19], v[79:80]
	v_mul_f64 v[75:76], v[28:29], v[75:76]
	;; [unrolled: 1-line block ×3, first 2 shown]
	v_fma_f64 v[42:43], v[6:7], v[54:55], -v[81:82]
	v_fma_f64 v[24:25], v[24:25], v[58:59], -v[83:84]
	v_fma_f64 v[54:55], v[14:15], v[54:55], v[56:57]
	v_fma_f64 v[16:17], v[16:17], v[58:59], v[60:61]
	v_fma_f64 v[30:31], v[30:31], v[62:63], -v[85:86]
	v_fma_f64 v[52:53], v[52:53], v[66:67], -v[87:88]
	v_fma_f64 v[22:23], v[22:23], v[62:63], v[64:65]
	v_fma_f64 v[48:49], v[48:49], v[66:67], v[68:69]
	v_fma_f64 v[28:29], v[28:29], v[73:74], -v[89:90]
	v_fma_f64 v[26:27], v[26:27], v[77:78], -v[91:92]
	v_fma_f64 v[20:21], v[20:21], v[73:74], v[75:76]
	v_fma_f64 v[56:57], v[18:19], v[77:78], v[79:80]
	v_lshrrev_b32_e32 v14, 8, v50
	v_lshrrev_b32_e32 v15, 8, v95
	v_lshlrev_b64 v[6:7], 4, v[40:41]
	v_mad_u32_u24 v50, 0x384, v14, v71
	v_add_co_u32 v6, vcc_lo, v93, v6
	v_lshlrev_b64 v[18:19], 4, v[50:51]
	v_add_f64 v[58:59], v[42:43], v[24:25]
	v_mad_u32_u24 v50, 0x384, v15, v72
	v_add_f64 v[60:61], v[54:55], v[16:17]
	v_add_co_ci_u32_e32 v7, vcc_lo, v94, v7, vcc_lo
	v_add_f64 v[62:63], v[30:31], v[52:53]
	v_add_f64 v[64:65], v[22:23], v[48:49]
	v_add_co_u32 v14, vcc_lo, 0x1800, v6
	v_add_f64 v[66:67], v[28:29], v[26:27]
	v_add_f64 v[71:72], v[20:21], v[56:57]
	v_add_co_ci_u32_e32 v15, vcc_lo, 0, v7, vcc_lo
	v_add_co_u32 v68, vcc_lo, 0x3800, v6
	v_add_co_ci_u32_e32 v69, vcc_lo, 0, v7, vcc_lo
	v_add_co_u32 v73, vcc_lo, v93, v18
	v_add_co_ci_u32_e32 v74, vcc_lo, v94, v19, vcc_lo
	v_add_f64 v[75:76], v[54:55], -v[16:17]
	v_add_f64 v[18:19], v[0:1], v[42:43]
	v_add_f64 v[54:55], v[8:9], v[54:55]
	;; [unrolled: 1-line block ×3, first 2 shown]
	v_fma_f64 v[58:59], v[58:59], -0.5, v[0:1]
	v_add_f64 v[41:42], v[42:43], -v[24:25]
	v_fma_f64 v[60:61], v[60:61], -0.5, v[8:9]
	v_add_f64 v[83:84], v[10:11], v[20:21]
	v_add_f64 v[77:78], v[4:5], v[30:31]
	;; [unrolled: 1-line block ×3, first 2 shown]
	v_fma_f64 v[4:5], v[62:63], -0.5, v[4:5]
	v_add_f64 v[62:63], v[30:31], -v[52:53]
	v_fma_f64 v[12:13], v[64:65], -0.5, v[12:13]
	v_add_f64 v[64:65], v[20:21], -v[56:57]
	;; [unrolled: 2-line block ×4, first 2 shown]
	v_lshlrev_b64 v[89:90], 4, v[50:51]
	v_add_co_u32 v91, vcc_lo, 0x1800, v73
	v_add_co_ci_u32_e32 v92, vcc_lo, 0, v74, vcc_lo
	v_add_f64 v[2:3], v[18:19], v[24:25]
	v_add_f64 v[0:1], v[54:55], v[16:17]
	;; [unrolled: 1-line block ×3, first 2 shown]
	v_fma_f64 v[26:27], v[75:76], s[6:7], v[58:59]
	v_fma_f64 v[22:23], v[75:76], s[4:5], v[58:59]
	;; [unrolled: 1-line block ×4, first 2 shown]
	v_add_f64 v[16:17], v[83:84], v[56:57]
	v_add_f64 v[10:11], v[77:78], v[52:53]
	v_add_f64 v[8:9], v[79:80], v[48:49]
	v_fma_f64 v[28:29], v[62:63], s[6:7], v[12:13]
	v_fma_f64 v[52:53], v[62:63], s[4:5], v[12:13]
	v_fma_f64 v[62:63], v[64:65], s[6:7], v[66:67]
	v_fma_f64 v[58:59], v[64:65], s[4:5], v[66:67]
	v_fma_f64 v[60:61], v[87:88], s[4:5], v[71:72]
	v_fma_f64 v[56:57], v[87:88], s[6:7], v[71:72]
	v_fma_f64 v[54:55], v[85:86], s[6:7], v[4:5]
	v_fma_f64 v[30:31], v[85:86], s[4:5], v[4:5]
	v_add_co_u32 v4, vcc_lo, v93, v89
	v_add_co_ci_u32_e32 v5, vcc_lo, v94, v90, vcc_lo
	v_add_co_u32 v12, vcc_lo, 0x3800, v73
	v_add_co_ci_u32_e32 v13, vcc_lo, 0, v74, vcc_lo
	;; [unrolled: 2-line block ×4, first 2 shown]
	global_store_dwordx4 v[6:7], v[0:3], off
	global_store_dwordx4 v[14:15], v[24:27], off offset:1056
	global_store_dwordx4 v[68:69], v[20:23], off offset:64
	global_store_dwordx4 v[73:74], v[16:19], off
	global_store_dwordx4 v[91:92], v[60:63], off offset:1056
	global_store_dwordx4 v[12:13], v[56:59], off offset:64
	global_store_dwordx4 v[4:5], v[8:11], off
	global_store_dwordx4 v[41:42], v[52:55], off offset:1056
	global_store_dwordx4 v[48:49], v[28:31], off offset:64
	s_and_b32 exec_lo, exec_lo, s0
	s_cbranch_execz .LBB0_34
; %bb.33:
	v_subrev_nc_u32_e32 v0, 45, v40
	v_cndmask_b32_e64 v0, v0, v70, s0
	v_lshlrev_b32_e32 v50, 1, v0
	v_lshlrev_b64 v[0:1], 4, v[50:51]
	v_add_co_u32 v2, vcc_lo, s8, v0
	v_add_co_ci_u32_e32 v3, vcc_lo, s9, v1, vcc_lo
	v_add_co_u32 v0, vcc_lo, 0x1800, v2
	v_add_co_ci_u32_e32 v1, vcc_lo, 0, v3, vcc_lo
	;; [unrolled: 2-line block ×3, first 2 shown]
	s_clause 0x1
	global_load_dwordx4 v[0:3], v[0:1], off offset:976
	global_load_dwordx4 v[8:11], v[4:5], off offset:16
	s_waitcnt vmcnt(1)
	v_mul_f64 v[4:5], v[44:45], v[2:3]
	s_waitcnt vmcnt(0)
	v_mul_f64 v[12:13], v[46:47], v[10:11]
	v_mul_f64 v[2:3], v[34:35], v[2:3]
	;; [unrolled: 1-line block ×3, first 2 shown]
	v_fma_f64 v[4:5], v[34:35], v[0:1], v[4:5]
	v_fma_f64 v[12:13], v[36:37], v[8:9], v[12:13]
	v_fma_f64 v[0:1], v[44:45], v[0:1], -v[2:3]
	v_fma_f64 v[2:3], v[46:47], v[8:9], -v[10:11]
	v_add_f64 v[16:17], v[32:33], v[4:5]
	v_add_f64 v[8:9], v[4:5], v[12:13]
	;; [unrolled: 1-line block ×4, first 2 shown]
	v_add_f64 v[18:19], v[0:1], -v[2:3]
	v_add_f64 v[4:5], v[4:5], -v[12:13]
	v_add_f64 v[0:1], v[16:17], v[12:13]
	v_fma_f64 v[22:23], v[8:9], -0.5, v[32:33]
	v_add_f64 v[2:3], v[20:21], v[2:3]
	v_fma_f64 v[24:25], v[10:11], -0.5, v[38:39]
	v_fma_f64 v[8:9], v[18:19], s[4:5], v[22:23]
	v_fma_f64 v[16:17], v[18:19], s[6:7], v[22:23]
	;; [unrolled: 1-line block ×4, first 2 shown]
	v_add_co_u32 v4, vcc_lo, 0x3000, v6
	v_add_co_ci_u32_e32 v5, vcc_lo, 0, v7, vcc_lo
	v_add_co_u32 v6, vcc_lo, 0x5000, v6
	v_add_co_ci_u32_e32 v7, vcc_lo, 0, v7, vcc_lo
	global_store_dwordx4 v[14:15], v[0:3], off offset:336
	global_store_dwordx4 v[4:5], v[8:11], off offset:1392
	;; [unrolled: 1-line block ×3, first 2 shown]
.LBB0_34:
	s_endpgm
	.section	.rodata,"a",@progbits
	.p2align	6, 0x0
	.amdhsa_kernel fft_rtc_back_len1350_factors_5_10_3_3_3_wgs_135_tpt_135_halfLds_dp_ip_CI_unitstride_sbrr_dirReg
		.amdhsa_group_segment_fixed_size 0
		.amdhsa_private_segment_fixed_size 0
		.amdhsa_kernarg_size 88
		.amdhsa_user_sgpr_count 6
		.amdhsa_user_sgpr_private_segment_buffer 1
		.amdhsa_user_sgpr_dispatch_ptr 0
		.amdhsa_user_sgpr_queue_ptr 0
		.amdhsa_user_sgpr_kernarg_segment_ptr 1
		.amdhsa_user_sgpr_dispatch_id 0
		.amdhsa_user_sgpr_flat_scratch_init 0
		.amdhsa_user_sgpr_private_segment_size 0
		.amdhsa_wavefront_size32 1
		.amdhsa_uses_dynamic_stack 0
		.amdhsa_system_sgpr_private_segment_wavefront_offset 0
		.amdhsa_system_sgpr_workgroup_id_x 1
		.amdhsa_system_sgpr_workgroup_id_y 0
		.amdhsa_system_sgpr_workgroup_id_z 0
		.amdhsa_system_sgpr_workgroup_info 0
		.amdhsa_system_vgpr_workitem_id 0
		.amdhsa_next_free_vgpr 113
		.amdhsa_next_free_sgpr 21
		.amdhsa_reserve_vcc 1
		.amdhsa_reserve_flat_scratch 0
		.amdhsa_float_round_mode_32 0
		.amdhsa_float_round_mode_16_64 0
		.amdhsa_float_denorm_mode_32 3
		.amdhsa_float_denorm_mode_16_64 3
		.amdhsa_dx10_clamp 1
		.amdhsa_ieee_mode 1
		.amdhsa_fp16_overflow 0
		.amdhsa_workgroup_processor_mode 1
		.amdhsa_memory_ordered 1
		.amdhsa_forward_progress 0
		.amdhsa_shared_vgpr_count 0
		.amdhsa_exception_fp_ieee_invalid_op 0
		.amdhsa_exception_fp_denorm_src 0
		.amdhsa_exception_fp_ieee_div_zero 0
		.amdhsa_exception_fp_ieee_overflow 0
		.amdhsa_exception_fp_ieee_underflow 0
		.amdhsa_exception_fp_ieee_inexact 0
		.amdhsa_exception_int_div_zero 0
	.end_amdhsa_kernel
	.text
.Lfunc_end0:
	.size	fft_rtc_back_len1350_factors_5_10_3_3_3_wgs_135_tpt_135_halfLds_dp_ip_CI_unitstride_sbrr_dirReg, .Lfunc_end0-fft_rtc_back_len1350_factors_5_10_3_3_3_wgs_135_tpt_135_halfLds_dp_ip_CI_unitstride_sbrr_dirReg
                                        ; -- End function
	.section	.AMDGPU.csdata,"",@progbits
; Kernel info:
; codeLenInByte = 9476
; NumSgprs: 23
; NumVgprs: 113
; ScratchSize: 0
; MemoryBound: 1
; FloatMode: 240
; IeeeMode: 1
; LDSByteSize: 0 bytes/workgroup (compile time only)
; SGPRBlocks: 2
; VGPRBlocks: 14
; NumSGPRsForWavesPerEU: 23
; NumVGPRsForWavesPerEU: 113
; Occupancy: 8
; WaveLimiterHint : 1
; COMPUTE_PGM_RSRC2:SCRATCH_EN: 0
; COMPUTE_PGM_RSRC2:USER_SGPR: 6
; COMPUTE_PGM_RSRC2:TRAP_HANDLER: 0
; COMPUTE_PGM_RSRC2:TGID_X_EN: 1
; COMPUTE_PGM_RSRC2:TGID_Y_EN: 0
; COMPUTE_PGM_RSRC2:TGID_Z_EN: 0
; COMPUTE_PGM_RSRC2:TIDIG_COMP_CNT: 0
	.text
	.p2alignl 6, 3214868480
	.fill 48, 4, 3214868480
	.type	__hip_cuid_62bdc3ddc37a39f0,@object ; @__hip_cuid_62bdc3ddc37a39f0
	.section	.bss,"aw",@nobits
	.globl	__hip_cuid_62bdc3ddc37a39f0
__hip_cuid_62bdc3ddc37a39f0:
	.byte	0                               ; 0x0
	.size	__hip_cuid_62bdc3ddc37a39f0, 1

	.ident	"AMD clang version 19.0.0git (https://github.com/RadeonOpenCompute/llvm-project roc-6.4.0 25133 c7fe45cf4b819c5991fe208aaa96edf142730f1d)"
	.section	".note.GNU-stack","",@progbits
	.addrsig
	.addrsig_sym __hip_cuid_62bdc3ddc37a39f0
	.amdgpu_metadata
---
amdhsa.kernels:
  - .args:
      - .actual_access:  read_only
        .address_space:  global
        .offset:         0
        .size:           8
        .value_kind:     global_buffer
      - .offset:         8
        .size:           8
        .value_kind:     by_value
      - .actual_access:  read_only
        .address_space:  global
        .offset:         16
        .size:           8
        .value_kind:     global_buffer
      - .actual_access:  read_only
        .address_space:  global
        .offset:         24
        .size:           8
        .value_kind:     global_buffer
      - .offset:         32
        .size:           8
        .value_kind:     by_value
      - .actual_access:  read_only
        .address_space:  global
        .offset:         40
        .size:           8
        .value_kind:     global_buffer
      - .actual_access:  read_only
        .address_space:  global
        .offset:         48
        .size:           8
        .value_kind:     global_buffer
      - .offset:         56
        .size:           4
        .value_kind:     by_value
      - .actual_access:  read_only
        .address_space:  global
        .offset:         64
        .size:           8
        .value_kind:     global_buffer
      - .actual_access:  read_only
        .address_space:  global
        .offset:         72
        .size:           8
        .value_kind:     global_buffer
      - .address_space:  global
        .offset:         80
        .size:           8
        .value_kind:     global_buffer
    .group_segment_fixed_size: 0
    .kernarg_segment_align: 8
    .kernarg_segment_size: 88
    .language:       OpenCL C
    .language_version:
      - 2
      - 0
    .max_flat_workgroup_size: 135
    .name:           fft_rtc_back_len1350_factors_5_10_3_3_3_wgs_135_tpt_135_halfLds_dp_ip_CI_unitstride_sbrr_dirReg
    .private_segment_fixed_size: 0
    .sgpr_count:     23
    .sgpr_spill_count: 0
    .symbol:         fft_rtc_back_len1350_factors_5_10_3_3_3_wgs_135_tpt_135_halfLds_dp_ip_CI_unitstride_sbrr_dirReg.kd
    .uniform_work_group_size: 1
    .uses_dynamic_stack: false
    .vgpr_count:     113
    .vgpr_spill_count: 0
    .wavefront_size: 32
    .workgroup_processor_mode: 1
amdhsa.target:   amdgcn-amd-amdhsa--gfx1030
amdhsa.version:
  - 1
  - 2
...

	.end_amdgpu_metadata
